;; amdgpu-corpus repo=ROCm/rocFFT kind=compiled arch=gfx906 opt=O3
	.text
	.amdgcn_target "amdgcn-amd-amdhsa--gfx906"
	.amdhsa_code_object_version 6
	.protected	fft_rtc_fwd_len1386_factors_2_7_3_11_3_wgs_231_tpt_231_halfLds_sp_ip_CI_sbrr_dirReg ; -- Begin function fft_rtc_fwd_len1386_factors_2_7_3_11_3_wgs_231_tpt_231_halfLds_sp_ip_CI_sbrr_dirReg
	.globl	fft_rtc_fwd_len1386_factors_2_7_3_11_3_wgs_231_tpt_231_halfLds_sp_ip_CI_sbrr_dirReg
	.p2align	8
	.type	fft_rtc_fwd_len1386_factors_2_7_3_11_3_wgs_231_tpt_231_halfLds_sp_ip_CI_sbrr_dirReg,@function
fft_rtc_fwd_len1386_factors_2_7_3_11_3_wgs_231_tpt_231_halfLds_sp_ip_CI_sbrr_dirReg: ; @fft_rtc_fwd_len1386_factors_2_7_3_11_3_wgs_231_tpt_231_halfLds_sp_ip_CI_sbrr_dirReg
; %bb.0:
	s_load_dwordx2 s[14:15], s[4:5], 0x18
	s_load_dwordx4 s[8:11], s[4:5], 0x0
	s_load_dwordx2 s[12:13], s[4:5], 0x50
	v_mul_u32_u24_e32 v1, 0x11c, v0
	v_add_u32_sdwa v5, s6, v1 dst_sel:DWORD dst_unused:UNUSED_PAD src0_sel:DWORD src1_sel:WORD_1
	s_waitcnt lgkmcnt(0)
	s_load_dwordx2 s[2:3], s[14:15], 0x0
	v_cmp_lt_u64_e64 s[0:1], s[10:11], 2
	v_mov_b32_e32 v3, 0
	v_mov_b32_e32 v1, 0
	;; [unrolled: 1-line block ×3, first 2 shown]
	s_and_b64 vcc, exec, s[0:1]
	v_mov_b32_e32 v2, 0
	s_cbranch_vccnz .LBB0_8
; %bb.1:
	s_load_dwordx2 s[0:1], s[4:5], 0x10
	s_add_u32 s6, s14, 8
	s_addc_u32 s7, s15, 0
	v_mov_b32_e32 v1, 0
	v_mov_b32_e32 v2, 0
	s_waitcnt lgkmcnt(0)
	s_add_u32 s16, s0, 8
	s_addc_u32 s17, s1, 0
	s_mov_b64 s[18:19], 1
.LBB0_2:                                ; =>This Inner Loop Header: Depth=1
	s_load_dwordx2 s[20:21], s[16:17], 0x0
                                        ; implicit-def: $vgpr7_vgpr8
	s_waitcnt lgkmcnt(0)
	v_or_b32_e32 v4, s21, v6
	v_cmp_ne_u64_e32 vcc, 0, v[3:4]
	s_and_saveexec_b64 s[0:1], vcc
	s_xor_b64 s[22:23], exec, s[0:1]
	s_cbranch_execz .LBB0_4
; %bb.3:                                ;   in Loop: Header=BB0_2 Depth=1
	v_cvt_f32_u32_e32 v4, s20
	v_cvt_f32_u32_e32 v7, s21
	s_sub_u32 s0, 0, s20
	s_subb_u32 s1, 0, s21
	v_mac_f32_e32 v4, 0x4f800000, v7
	v_rcp_f32_e32 v4, v4
	v_mul_f32_e32 v4, 0x5f7ffffc, v4
	v_mul_f32_e32 v7, 0x2f800000, v4
	v_trunc_f32_e32 v7, v7
	v_mac_f32_e32 v4, 0xcf800000, v7
	v_cvt_u32_f32_e32 v7, v7
	v_cvt_u32_f32_e32 v4, v4
	v_mul_lo_u32 v8, s0, v7
	v_mul_hi_u32 v9, s0, v4
	v_mul_lo_u32 v11, s1, v4
	v_mul_lo_u32 v10, s0, v4
	v_add_u32_e32 v8, v9, v8
	v_add_u32_e32 v8, v8, v11
	v_mul_hi_u32 v9, v4, v10
	v_mul_lo_u32 v11, v4, v8
	v_mul_hi_u32 v13, v4, v8
	v_mul_hi_u32 v12, v7, v10
	v_mul_lo_u32 v10, v7, v10
	v_mul_hi_u32 v14, v7, v8
	v_add_co_u32_e32 v9, vcc, v9, v11
	v_addc_co_u32_e32 v11, vcc, 0, v13, vcc
	v_mul_lo_u32 v8, v7, v8
	v_add_co_u32_e32 v9, vcc, v9, v10
	v_addc_co_u32_e32 v9, vcc, v11, v12, vcc
	v_addc_co_u32_e32 v10, vcc, 0, v14, vcc
	v_add_co_u32_e32 v8, vcc, v9, v8
	v_addc_co_u32_e32 v9, vcc, 0, v10, vcc
	v_add_co_u32_e32 v4, vcc, v4, v8
	v_addc_co_u32_e32 v7, vcc, v7, v9, vcc
	v_mul_lo_u32 v8, s0, v7
	v_mul_hi_u32 v9, s0, v4
	v_mul_lo_u32 v10, s1, v4
	v_mul_lo_u32 v11, s0, v4
	v_add_u32_e32 v8, v9, v8
	v_add_u32_e32 v8, v8, v10
	v_mul_lo_u32 v12, v4, v8
	v_mul_hi_u32 v13, v4, v11
	v_mul_hi_u32 v14, v4, v8
	;; [unrolled: 1-line block ×3, first 2 shown]
	v_mul_lo_u32 v11, v7, v11
	v_mul_hi_u32 v9, v7, v8
	v_add_co_u32_e32 v12, vcc, v13, v12
	v_addc_co_u32_e32 v13, vcc, 0, v14, vcc
	v_mul_lo_u32 v8, v7, v8
	v_add_co_u32_e32 v11, vcc, v12, v11
	v_addc_co_u32_e32 v10, vcc, v13, v10, vcc
	v_addc_co_u32_e32 v9, vcc, 0, v9, vcc
	v_add_co_u32_e32 v8, vcc, v10, v8
	v_addc_co_u32_e32 v9, vcc, 0, v9, vcc
	v_add_co_u32_e32 v4, vcc, v4, v8
	v_addc_co_u32_e32 v9, vcc, v7, v9, vcc
	v_mad_u64_u32 v[7:8], s[0:1], v5, v9, 0
	v_mul_hi_u32 v10, v5, v4
	v_add_co_u32_e32 v11, vcc, v10, v7
	v_addc_co_u32_e32 v12, vcc, 0, v8, vcc
	v_mad_u64_u32 v[7:8], s[0:1], v6, v4, 0
	v_mad_u64_u32 v[9:10], s[0:1], v6, v9, 0
	v_add_co_u32_e32 v4, vcc, v11, v7
	v_addc_co_u32_e32 v4, vcc, v12, v8, vcc
	v_addc_co_u32_e32 v7, vcc, 0, v10, vcc
	v_add_co_u32_e32 v4, vcc, v4, v9
	v_addc_co_u32_e32 v9, vcc, 0, v7, vcc
	v_mul_lo_u32 v10, s21, v4
	v_mul_lo_u32 v11, s20, v9
	v_mad_u64_u32 v[7:8], s[0:1], s20, v4, 0
	v_add3_u32 v8, v8, v11, v10
	v_sub_u32_e32 v10, v6, v8
	v_mov_b32_e32 v11, s21
	v_sub_co_u32_e32 v7, vcc, v5, v7
	v_subb_co_u32_e64 v10, s[0:1], v10, v11, vcc
	v_subrev_co_u32_e64 v11, s[0:1], s20, v7
	v_subbrev_co_u32_e64 v10, s[0:1], 0, v10, s[0:1]
	v_cmp_le_u32_e64 s[0:1], s21, v10
	v_cndmask_b32_e64 v12, 0, -1, s[0:1]
	v_cmp_le_u32_e64 s[0:1], s20, v11
	v_cndmask_b32_e64 v11, 0, -1, s[0:1]
	v_cmp_eq_u32_e64 s[0:1], s21, v10
	v_cndmask_b32_e64 v10, v12, v11, s[0:1]
	v_add_co_u32_e64 v11, s[0:1], 2, v4
	v_addc_co_u32_e64 v12, s[0:1], 0, v9, s[0:1]
	v_add_co_u32_e64 v13, s[0:1], 1, v4
	v_addc_co_u32_e64 v14, s[0:1], 0, v9, s[0:1]
	v_subb_co_u32_e32 v8, vcc, v6, v8, vcc
	v_cmp_ne_u32_e64 s[0:1], 0, v10
	v_cmp_le_u32_e32 vcc, s21, v8
	v_cndmask_b32_e64 v10, v14, v12, s[0:1]
	v_cndmask_b32_e64 v12, 0, -1, vcc
	v_cmp_le_u32_e32 vcc, s20, v7
	v_cndmask_b32_e64 v7, 0, -1, vcc
	v_cmp_eq_u32_e32 vcc, s21, v8
	v_cndmask_b32_e32 v7, v12, v7, vcc
	v_cmp_ne_u32_e32 vcc, 0, v7
	v_cndmask_b32_e64 v7, v13, v11, s[0:1]
	v_cndmask_b32_e32 v8, v9, v10, vcc
	v_cndmask_b32_e32 v7, v4, v7, vcc
.LBB0_4:                                ;   in Loop: Header=BB0_2 Depth=1
	s_andn2_saveexec_b64 s[0:1], s[22:23]
	s_cbranch_execz .LBB0_6
; %bb.5:                                ;   in Loop: Header=BB0_2 Depth=1
	v_cvt_f32_u32_e32 v4, s20
	s_sub_i32 s22, 0, s20
	v_rcp_iflag_f32_e32 v4, v4
	v_mul_f32_e32 v4, 0x4f7ffffe, v4
	v_cvt_u32_f32_e32 v4, v4
	v_mul_lo_u32 v7, s22, v4
	v_mul_hi_u32 v7, v4, v7
	v_add_u32_e32 v4, v4, v7
	v_mul_hi_u32 v4, v5, v4
	v_mul_lo_u32 v7, v4, s20
	v_add_u32_e32 v8, 1, v4
	v_sub_u32_e32 v7, v5, v7
	v_subrev_u32_e32 v9, s20, v7
	v_cmp_le_u32_e32 vcc, s20, v7
	v_cndmask_b32_e32 v7, v7, v9, vcc
	v_cndmask_b32_e32 v4, v4, v8, vcc
	v_add_u32_e32 v8, 1, v4
	v_cmp_le_u32_e32 vcc, s20, v7
	v_cndmask_b32_e32 v7, v4, v8, vcc
	v_mov_b32_e32 v8, v3
.LBB0_6:                                ;   in Loop: Header=BB0_2 Depth=1
	s_or_b64 exec, exec, s[0:1]
	v_mul_lo_u32 v4, v8, s20
	v_mul_lo_u32 v11, v7, s21
	v_mad_u64_u32 v[9:10], s[0:1], v7, s20, 0
	s_load_dwordx2 s[0:1], s[6:7], 0x0
	s_add_u32 s18, s18, 1
	v_add3_u32 v4, v10, v11, v4
	v_sub_co_u32_e32 v5, vcc, v5, v9
	v_subb_co_u32_e32 v4, vcc, v6, v4, vcc
	s_waitcnt lgkmcnt(0)
	v_mul_lo_u32 v4, s0, v4
	v_mul_lo_u32 v6, s1, v5
	v_mad_u64_u32 v[1:2], s[0:1], s0, v5, v[1:2]
	s_addc_u32 s19, s19, 0
	s_add_u32 s6, s6, 8
	v_add3_u32 v2, v6, v2, v4
	v_mov_b32_e32 v4, s10
	v_mov_b32_e32 v5, s11
	s_addc_u32 s7, s7, 0
	v_cmp_ge_u64_e32 vcc, s[18:19], v[4:5]
	s_add_u32 s16, s16, 8
	s_addc_u32 s17, s17, 0
	s_cbranch_vccnz .LBB0_9
; %bb.7:                                ;   in Loop: Header=BB0_2 Depth=1
	v_mov_b32_e32 v5, v7
	v_mov_b32_e32 v6, v8
	s_branch .LBB0_2
.LBB0_8:
	v_mov_b32_e32 v8, v6
	v_mov_b32_e32 v7, v5
.LBB0_9:
	s_lshl_b64 s[0:1], s[10:11], 3
	s_add_u32 s0, s14, s0
	s_addc_u32 s1, s15, s1
	s_load_dwordx2 s[6:7], s[0:1], 0x0
	s_load_dwordx2 s[10:11], s[4:5], 0x20
                                        ; implicit-def: $vgpr23
                                        ; implicit-def: $vgpr19
	s_waitcnt lgkmcnt(0)
	v_mad_u64_u32 v[1:2], s[0:1], s6, v7, v[1:2]
	s_mov_b32 s0, 0x11bb4a5
	v_mul_lo_u32 v3, s6, v8
	v_mul_lo_u32 v4, s7, v7
	v_mul_hi_u32 v5, v0, s0
	v_cmp_gt_u64_e32 vcc, s[10:11], v[7:8]
	v_cmp_le_u64_e64 s[0:1], s[10:11], v[7:8]
	v_add3_u32 v2, v4, v2, v3
	v_mul_u32_u24_e32 v3, 0xe7, v5
	v_sub_u32_e32 v22, v0, v3
                                        ; implicit-def: $sgpr6_sgpr7
	s_and_saveexec_b64 s[4:5], s[0:1]
	s_xor_b64 s[0:1], exec, s[4:5]
; %bb.10:
	v_add_u32_e32 v23, 0xe7, v22
	v_add_u32_e32 v19, 0x1ce, v22
	s_mov_b64 s[6:7], 0
; %bb.11:
	s_or_saveexec_b64 s[4:5], s[0:1]
	v_mov_b32_e32 v10, s7
	v_lshlrev_b64 v[0:1], 3, v[1:2]
	v_mov_b32_e32 v14, s7
	v_mov_b32_e32 v18, s7
	;; [unrolled: 1-line block ×5, first 2 shown]
                                        ; implicit-def: $vgpr4
                                        ; implicit-def: $vgpr12
                                        ; implicit-def: $vgpr16
	s_xor_b64 exec, exec, s[4:5]
	s_cbranch_execz .LBB0_13
; %bb.12:
	v_mad_u64_u32 v[2:3], s[0:1], s2, v22, 0
	v_add_u32_e32 v7, 0x2b5, v22
	v_mov_b32_e32 v6, s13
	v_mad_u64_u32 v[3:4], s[0:1], s3, v22, v[3:4]
	v_mad_u64_u32 v[4:5], s[0:1], s2, v7, 0
	v_add_co_u32_e64 v26, s[0:1], s12, v0
	v_addc_co_u32_e64 v27, s[0:1], v6, v1, s[0:1]
	v_mad_u64_u32 v[5:6], s[0:1], s3, v7, v[5:6]
	v_add_u32_e32 v23, 0xe7, v22
	v_mad_u64_u32 v[6:7], s[0:1], s2, v23, 0
	v_lshlrev_b64 v[2:3], 3, v[2:3]
	v_add_u32_e32 v19, 0x1ce, v22
	v_add_co_u32_e64 v15, s[0:1], v26, v2
	v_addc_co_u32_e64 v16, s[0:1], v27, v3, s[0:1]
	v_lshlrev_b64 v[2:3], 3, v[4:5]
	v_mov_b32_e32 v4, v7
	v_mad_u64_u32 v[4:5], s[0:1], s3, v23, v[4:5]
	v_add_u32_e32 v5, 0x39c, v22
	v_mad_u64_u32 v[8:9], s[0:1], s2, v5, 0
	v_add_co_u32_e64 v17, s[0:1], v26, v2
	v_mov_b32_e32 v7, v4
	v_mov_b32_e32 v4, v9
	v_addc_co_u32_e64 v18, s[0:1], v27, v3, s[0:1]
	v_mad_u64_u32 v[4:5], s[0:1], s3, v5, v[4:5]
	v_lshlrev_b64 v[2:3], 3, v[6:7]
	v_mad_u64_u32 v[5:6], s[0:1], s2, v19, 0
	v_add_co_u32_e64 v20, s[0:1], v26, v2
	v_mov_b32_e32 v9, v4
	v_mov_b32_e32 v4, v6
	v_addc_co_u32_e64 v21, s[0:1], v27, v3, s[0:1]
	v_lshlrev_b64 v[2:3], 3, v[8:9]
	v_mad_u64_u32 v[6:7], s[0:1], s3, v19, v[4:5]
	v_add_u32_e32 v9, 0x483, v22
	v_mad_u64_u32 v[7:8], s[0:1], s2, v9, 0
	v_add_co_u32_e64 v24, s[0:1], v26, v2
	v_mov_b32_e32 v4, v8
	v_addc_co_u32_e64 v25, s[0:1], v27, v3, s[0:1]
	v_lshlrev_b64 v[2:3], 3, v[5:6]
	v_mad_u64_u32 v[4:5], s[0:1], s3, v9, v[4:5]
	v_add_co_u32_e64 v5, s[0:1], v26, v2
	v_mov_b32_e32 v8, v4
	v_lshlrev_b64 v[7:8], 3, v[7:8]
	v_addc_co_u32_e64 v6, s[0:1], v27, v3, s[0:1]
	global_load_dwordx2 v[9:10], v[15:16], off
	global_load_dwordx2 v[3:4], v[17:18], off
	;; [unrolled: 1-line block ×4, first 2 shown]
	v_add_co_u32_e64 v7, s[0:1], v26, v7
	v_addc_co_u32_e64 v8, s[0:1], v27, v8, s[0:1]
	global_load_dwordx2 v[17:18], v[5:6], off
	global_load_dwordx2 v[15:16], v[7:8], off
.LBB0_13:
	s_or_b64 exec, exec, s[4:5]
	s_waitcnt vmcnt(4)
	v_sub_f32_e32 v3, v9, v3
	v_fma_f32 v2, v9, 2.0, -v3
	s_waitcnt vmcnt(2)
	v_sub_f32_e32 v7, v13, v11
	s_waitcnt vmcnt(0)
	v_sub_f32_e32 v9, v17, v15
	s_movk_i32 s0, 0xc6
	v_fma_f32 v6, v13, 2.0, -v7
	v_fma_f32 v8, v17, 2.0, -v9
	v_lshl_add_u32 v15, v22, 3, 0
	v_lshl_add_u32 v17, v23, 3, 0
	;; [unrolled: 1-line block ×3, first 2 shown]
	v_cmp_gt_u32_e64 s[0:1], s0, v22
	v_lshlrev_b32_e32 v21, 2, v22
	ds_write_b64 v15, v[2:3]
	ds_write_b64 v17, v[6:7]
	;; [unrolled: 1-line block ×3, first 2 shown]
	s_waitcnt lgkmcnt(0)
	s_barrier
	s_waitcnt lgkmcnt(0)
                                        ; implicit-def: $vgpr24
	s_and_saveexec_b64 s[4:5], s[0:1]
	s_cbranch_execz .LBB0_15
; %bb.14:
	v_sub_u32_e32 v5, v15, v21
	v_add_u32_e32 v6, 0x600, v5
	v_add_u32_e32 v8, 0xc00, v5
	ds_read2_b32 v[2:3], v5 offset1:198
	ds_read2_b32 v[6:7], v6 offset0:12 offset1:210
	ds_read2_b32 v[8:9], v8 offset0:24 offset1:222
	ds_read_b32 v24, v5 offset:4752
.LBB0_15:
	s_or_b64 exec, exec, s[4:5]
	v_sub_f32_e32 v5, v10, v4
	v_sub_f32_e32 v11, v14, v12
	;; [unrolled: 1-line block ×3, first 2 shown]
	v_fma_f32 v4, v10, 2.0, -v5
	v_fma_f32 v10, v14, 2.0, -v11
	;; [unrolled: 1-line block ×3, first 2 shown]
	s_waitcnt lgkmcnt(0)
	s_barrier
	ds_write_b64 v15, v[4:5]
	ds_write_b64 v17, v[10:11]
	;; [unrolled: 1-line block ×3, first 2 shown]
	s_waitcnt lgkmcnt(0)
	s_barrier
	s_waitcnt lgkmcnt(0)
                                        ; implicit-def: $vgpr16
	s_and_saveexec_b64 s[4:5], s[0:1]
	s_cbranch_execz .LBB0_17
; %bb.16:
	v_sub_u32_e32 v14, v15, v21
	v_add_u32_e32 v10, 0x600, v14
	v_add_u32_e32 v12, 0xc00, v14
	ds_read2_b32 v[4:5], v14 offset1:198
	ds_read2_b32 v[10:11], v10 offset0:12 offset1:210
	ds_read2_b32 v[12:13], v12 offset0:24 offset1:222
	ds_read_b32 v16, v14 offset:4752
.LBB0_17:
	s_or_b64 exec, exec, s[4:5]
	v_and_b32_e32 v14, 1, v22
	v_mul_u32_u24_e32 v18, 6, v14
	v_lshlrev_b32_e32 v18, 3, v18
	global_load_dwordx4 v[30:33], v18, s[8:9] offset:32
	global_load_dwordx4 v[34:37], v18, s[8:9] offset:16
	global_load_dwordx4 v[38:41], v18, s[8:9]
	s_waitcnt vmcnt(0) lgkmcnt(0)
	s_barrier
	v_mul_f32_e32 v42, v16, v33
	v_mul_f32_e32 v26, v24, v33
	;; [unrolled: 1-line block ×12, first 2 shown]
	v_fma_f32 v24, v24, v32, -v42
	v_fma_f32 v9, v9, v30, -v33
	;; [unrolled: 1-line block ×4, first 2 shown]
	v_fmac_f32_e32 v26, v16, v32
	v_fmac_f32_e32 v25, v13, v30
	v_fma_f32 v8, v8, v36, -v31
	v_fmac_f32_e32 v18, v12, v36
	v_fma_f32 v12, v7, v34, -v37
	v_fmac_f32_e32 v27, v11, v34
	v_fmac_f32_e32 v28, v10, v40
	;; [unrolled: 1-line block ×3, first 2 shown]
	v_add_f32_e32 v10, v3, v24
	v_add_f32_e32 v13, v6, v9
	;; [unrolled: 1-line block ×3, first 2 shown]
	v_sub_f32_e32 v11, v29, v26
	v_sub_f32_e32 v16, v28, v25
	;; [unrolled: 1-line block ×3, first 2 shown]
	v_add_f32_e32 v30, v13, v10
	v_sub_f32_e32 v31, v10, v5
	v_add_f32_e32 v32, v7, v16
	v_sub_f32_e32 v35, v7, v16
	v_sub_f32_e32 v7, v11, v7
	v_add_f32_e32 v38, v5, v30
	v_sub_f32_e32 v34, v5, v13
	v_mul_f32_e32 v36, 0x3f4a47b2, v31
	v_mul_f32_e32 v33, 0x3eae86e6, v7
	v_add_f32_e32 v5, v2, v38
	v_mov_b32_e32 v2, v36
	v_mov_b32_e32 v30, v33
	;; [unrolled: 1-line block ×3, first 2 shown]
	v_add_f32_e32 v37, v32, v11
	v_fmac_f32_e32 v2, 0x3d64c772, v34
	v_fmac_f32_e32 v30, 0xbf08b237, v35
	;; [unrolled: 1-line block ×4, first 2 shown]
	v_add_f32_e32 v32, v2, v31
	v_lshrrev_b32_e32 v7, 1, v22
	v_sub_f32_e32 v2, v32, v30
	s_and_saveexec_b64 s[4:5], s[0:1]
	s_cbranch_execz .LBB0_19
; %bb.18:
	v_sub_f32_e32 v10, v13, v10
	s_mov_b32 s6, 0xbf3bfb3b
	v_fma_f32 v13, v10, s6, -v36
	v_sub_f32_e32 v11, v16, v11
	s_mov_b32 s6, 0xbf5ff5aa
	v_mul_f32_e32 v35, 0xbf08b237, v35
	v_fma_f32 v16, v11, s6, -v33
	s_mov_b32 s6, 0x3f5ff5aa
	v_mul_f32_e32 v34, 0x3d64c772, v34
	v_fma_f32 v11, v11, s6, -v35
	;; [unrolled: 3-line block ×3, first 2 shown]
	v_add_f32_e32 v13, v13, v31
	v_add_f32_e32 v16, v37, v16
	;; [unrolled: 1-line block ×4, first 2 shown]
	v_sub_f32_e32 v33, v13, v16
	v_add_f32_e32 v31, v11, v10
	v_sub_f32_e32 v10, v10, v11
	v_add_f32_e32 v11, v16, v13
	v_mul_u32_u24_e32 v16, 14, v7
	v_or_b32_e32 v16, v16, v14
	v_add_f32_e32 v13, v30, v32
	v_lshl_add_u32 v16, v16, 2, 0
	ds_write2_b32 v16, v5, v13 offset1:2
	ds_write2_b32 v16, v11, v10 offset0:4 offset1:6
	ds_write2_b32 v16, v31, v33 offset0:8 offset1:10
	ds_write_b32 v16, v2 offset:48
.LBB0_19:
	s_or_b64 exec, exec, s[4:5]
	v_add_f32_e32 v26, v29, v26
	v_add_f32_e32 v25, v28, v25
	v_sub_f32_e32 v24, v3, v24
	v_sub_f32_e32 v28, v6, v9
	v_add_f32_e32 v3, v27, v18
	v_add_f32_e32 v6, v25, v26
	v_sub_f32_e32 v5, v8, v12
	v_sub_f32_e32 v8, v26, v3
	;; [unrolled: 1-line block ×3, first 2 shown]
	v_add_f32_e32 v3, v3, v6
	v_add_f32_e32 v16, v4, v3
	v_mul_f32_e32 v31, 0x3f4a47b2, v8
	v_mov_b32_e32 v18, v16
	v_fmac_f32_e32 v18, 0xbf955555, v3
	v_mov_b32_e32 v3, v31
	v_add_f32_e32 v9, v5, v28
	v_sub_f32_e32 v33, v5, v28
	v_sub_f32_e32 v5, v24, v5
	v_fmac_f32_e32 v3, 0x3d64c772, v32
	v_mul_f32_e32 v27, 0x3eae86e6, v5
	v_add_f32_e32 v30, v3, v18
	v_sub_u32_e32 v5, v15, v21
	v_lshlrev_b32_e32 v3, 2, v19
	v_lshlrev_b32_e32 v12, 2, v23
	v_sub_u32_e32 v11, 0, v3
	v_sub_u32_e32 v6, v20, v3
	v_add_u32_e32 v3, 0xa80, v5
	v_sub_u32_e32 v13, v17, v12
	s_waitcnt lgkmcnt(0)
	s_barrier
	ds_read_b32 v10, v5
	ds_read2_b32 v[3:4], v3 offset0:21 offset1:252
	ds_read_b32 v13, v13
	ds_read_b32 v6, v6
	ds_read_b32 v5, v5 offset:4620
	v_mov_b32_e32 v29, v27
	v_add_f32_e32 v34, v9, v24
	v_fmac_f32_e32 v29, 0xbf08b237, v33
	v_fmac_f32_e32 v29, 0x3ee1c552, v34
	v_add_f32_e32 v8, v29, v30
	v_sub_u32_e32 v9, 0, v21
	v_sub_u32_e32 v12, 0, v12
	s_waitcnt lgkmcnt(0)
	s_barrier
	s_and_saveexec_b64 s[4:5], s[0:1]
	s_cbranch_execz .LBB0_21
; %bb.20:
	v_mul_f32_e32 v19, 0x3d64c772, v32
	v_sub_f32_e32 v25, v25, v26
	s_mov_b32 s0, 0x3f3bfb3b
	v_fma_f32 v19, v25, s0, -v19
	s_mov_b32 s0, 0xbf3bfb3b
	v_mul_f32_e32 v32, 0xbf08b237, v33
	v_sub_f32_e32 v24, v28, v24
	v_fma_f32 v25, v25, s0, -v31
	s_mov_b32 s0, 0x3f5ff5aa
	v_fma_f32 v26, v24, s0, -v32
	s_mov_b32 s0, 0xbf5ff5aa
	v_mul_u32_u24_e32 v7, 14, v7
	v_mul_f32_e32 v21, 0x3ee1c552, v34
	v_fma_f32 v24, v24, s0, -v27
	v_or_b32_e32 v7, v7, v14
	v_add_f32_e32 v19, v19, v18
	v_add_f32_e32 v18, v25, v18
	;; [unrolled: 1-line block ×4, first 2 shown]
	v_sub_f32_e32 v24, v30, v29
	v_lshl_add_u32 v7, v7, 2, 0
	v_sub_f32_e32 v26, v18, v21
	v_add_f32_e32 v27, v25, v19
	v_sub_f32_e32 v19, v19, v25
	v_add_f32_e32 v18, v21, v18
	ds_write2_b32 v7, v16, v24 offset1:2
	ds_write2_b32 v7, v26, v27 offset0:4 offset1:6
	ds_write2_b32 v7, v19, v18 offset0:8 offset1:10
	ds_write_b32 v7, v8 offset:48
.LBB0_21:
	s_or_b64 exec, exec, s[4:5]
	v_lshrrev_b16_e32 v27, 1, v22
	v_and_b32_e32 v7, 0x7f, v27
	v_mul_lo_u16_e32 v7, 0x93, v7
	v_lshrrev_b16_e32 v7, 10, v7
	v_mul_lo_u16_e32 v14, 14, v7
	v_lshrrev_b16_e32 v18, 1, v23
	v_sub_u16_e32 v16, v22, v14
	v_mov_b32_e32 v14, 4
	v_mul_u32_u24_e32 v18, 0x4925, v18
	v_lshlrev_b32_sdwa v14, v14, v16 dst_sel:DWORD dst_unused:UNUSED_PAD src0_sel:DWORD src1_sel:BYTE_0
	v_lshrrev_b32_e32 v18, 17, v18
	s_waitcnt lgkmcnt(0)
	s_barrier
	global_load_dwordx4 v[32:35], v14, s[8:9] offset:96
	v_mul_lo_u16_e32 v14, 14, v18
	v_sub_u16_e32 v19, v23, v14
	v_lshlrev_b32_e32 v14, 4, v19
	global_load_dwordx4 v[36:39], v14, s[8:9] offset:96
	v_add_u32_e32 v24, v15, v9
	v_add_u32_e32 v25, v20, v11
	;; [unrolled: 1-line block ×4, first 2 shown]
	ds_read_b32 v14, v24
	ds_read_b32 v17, v26
	;; [unrolled: 1-line block ×3, first 2 shown]
	ds_read_b32 v40, v24 offset:4620
	ds_read2_b32 v[11:12], v11 offset0:21 offset1:252
	v_mov_b32_e32 v9, 2
	v_mul_u32_u24_e32 v15, 0xa8, v18
	v_mul_u32_u24_e32 v7, 0xa8, v7
	v_lshlrev_b32_e32 v18, 2, v19
	v_lshlrev_b32_sdwa v16, v9, v16 dst_sel:DWORD dst_unused:UNUSED_PAD src0_sel:DWORD src1_sel:BYTE_0
	v_add3_u32 v9, 0, v15, v18
	v_add3_u32 v20, 0, v7, v16
	s_movk_i32 s0, 0x7e
	v_cmp_gt_u32_e64 s[0:1], s0, v22
	s_waitcnt vmcnt(0) lgkmcnt(0)
	s_barrier
	s_waitcnt lgkmcnt(0)
                                        ; implicit-def: $vgpr41
	v_mul_f32_e32 v7, v29, v33
	v_mul_f32_e32 v15, v6, v33
	;; [unrolled: 1-line block ×6, first 2 shown]
	v_fma_f32 v31, v6, v32, -v7
	v_fmac_f32_e32 v15, v29, v32
	v_fma_f32 v32, v4, v34, -v18
	v_fma_f32 v29, v3, v36, -v19
	;; [unrolled: 1-line block ×3, first 2 shown]
	v_mul_f32_e32 v16, v3, v37
	v_mul_f32_e32 v21, v5, v39
	v_fmac_f32_e32 v28, v12, v34
	v_add_f32_e32 v4, v31, v32
	v_add_f32_e32 v12, v29, v30
	v_fmac_f32_e32 v16, v11, v36
	v_fmac_f32_e32 v21, v40, v38
	v_add_f32_e32 v3, v10, v31
	v_add_f32_e32 v7, v13, v29
	v_fmac_f32_e32 v10, -0.5, v4
	v_fmac_f32_e32 v13, -0.5, v12
	v_sub_f32_e32 v5, v15, v28
	v_sub_f32_e32 v18, v16, v21
	v_add_f32_e32 v11, v7, v30
	v_mov_b32_e32 v7, v10
	v_mov_b32_e32 v12, v13
	v_add_f32_e32 v6, v3, v32
	v_fmac_f32_e32 v10, 0xbf5db3d7, v5
	v_fmac_f32_e32 v13, 0xbf5db3d7, v18
	v_fmac_f32_e32 v7, 0x3f5db3d7, v5
	v_fmac_f32_e32 v12, 0x3f5db3d7, v18
	ds_write_b32 v20, v10 offset:112
	ds_write2_b32 v20, v6, v7 offset1:14
	ds_write2_b32 v9, v11, v12 offset1:14
	ds_write_b32 v9, v13 offset:112
	s_waitcnt lgkmcnt(0)
	s_barrier
	s_waitcnt lgkmcnt(0)
                                        ; implicit-def: $vgpr19
	s_and_saveexec_b64 s[4:5], s[0:1]
	s_cbranch_execz .LBB0_23
; %bb.22:
	v_add_u32_e32 v2, 0x200, v24
	ds_read2_b32 v[10:11], v2 offset0:124 offset1:250
	v_add_u32_e32 v2, 0x600, v24
	ds_read2_b32 v[12:13], v2 offset0:120 offset1:246
	v_add_u32_e32 v2, 0xa00, v24
	v_add_u32_e32 v4, 0xe00, v24
	ds_read2_b32 v[6:7], v24 offset1:126
	ds_read2_b32 v[2:3], v2 offset0:116 offset1:242
	ds_read2_b32 v[18:19], v4 offset0:112 offset1:238
	ds_read_b32 v41, v24 offset:5040
.LBB0_23:
	s_or_b64 exec, exec, s[4:5]
	v_add_f32_e32 v5, v15, v28
	v_add_f32_e32 v4, v14, v15
	v_fmac_f32_e32 v14, -0.5, v5
	v_sub_f32_e32 v15, v31, v32
	v_mov_b32_e32 v5, v14
	v_fmac_f32_e32 v5, 0xbf5db3d7, v15
	v_fmac_f32_e32 v14, 0x3f5db3d7, v15
	v_add_f32_e32 v15, v17, v16
	v_add_f32_e32 v16, v16, v21
	v_fmac_f32_e32 v17, -0.5, v16
	v_add_f32_e32 v15, v15, v21
	v_sub_f32_e32 v21, v29, v30
	v_mov_b32_e32 v16, v17
	v_add_f32_e32 v4, v4, v28
	v_fmac_f32_e32 v16, 0xbf5db3d7, v21
	v_fmac_f32_e32 v17, 0x3f5db3d7, v21
	s_waitcnt lgkmcnt(0)
	s_barrier
	ds_write2_b32 v20, v4, v5 offset1:14
	ds_write_b32 v20, v14 offset:112
	ds_write2_b32 v9, v15, v16 offset1:14
	ds_write_b32 v9, v17 offset:112
	s_waitcnt lgkmcnt(0)
	s_barrier
	s_waitcnt lgkmcnt(0)
                                        ; implicit-def: $vgpr42
                                        ; implicit-def: $vgpr21
	s_and_saveexec_b64 s[4:5], s[0:1]
	s_cbranch_execz .LBB0_25
; %bb.24:
	v_add_u32_e32 v8, 0x200, v24
	ds_read2_b32 v[14:15], v8 offset0:124 offset1:250
	v_add_u32_e32 v8, 0x600, v24
	ds_read2_b32 v[16:17], v8 offset0:120 offset1:246
	v_add_u32_e32 v8, 0xa00, v24
	v_add_u32_e32 v20, 0xe00, v24
	ds_read2_b32 v[4:5], v24 offset1:126
	ds_read2_b32 v[8:9], v8 offset0:116 offset1:242
	ds_read2_b32 v[20:21], v20 offset0:112 offset1:238
	ds_read_b32 v42, v24 offset:5040
.LBB0_25:
	s_or_b64 exec, exec, s[4:5]
	v_and_b32_e32 v27, 0x7f, v27
	v_mul_lo_u16_e32 v27, 49, v27
	v_lshrrev_b16_e32 v27, 10, v27
	v_mul_lo_u16_e32 v28, 42, v27
	v_sub_u16_e32 v28, v22, v28
	v_mov_b32_e32 v29, 10
	v_mul_u32_u24_sdwa v29, v28, v29 dst_sel:DWORD dst_unused:UNUSED_PAD src0_sel:BYTE_0 src1_sel:DWORD
	v_lshlrev_b32_e32 v29, 3, v29
	global_load_dwordx4 v[43:46], v29, s[8:9] offset:320
	global_load_dwordx4 v[47:50], v29, s[8:9] offset:336
	;; [unrolled: 1-line block ×5, first 2 shown]
	s_waitcnt vmcnt(0) lgkmcnt(0)
	s_barrier
	v_mul_f32_e32 v34, v5, v44
	v_mul_f32_e32 v38, v7, v44
	;; [unrolled: 1-line block ×15, first 2 shown]
	v_fma_f32 v39, v7, v43, -v34
	v_fmac_f32_e32 v38, v5, v43
	v_fma_f32 v36, v10, v45, -v36
	v_fmac_f32_e32 v35, v14, v45
	v_mul_f32_e32 v14, v18, v58
	v_mul_f32_e32 v43, v21, v60
	;; [unrolled: 1-line block ×4, first 2 shown]
	v_fma_f32 v34, v11, v47, -v40
	v_mul_f32_e32 v40, v41, v62
	v_fmac_f32_e32 v33, v15, v47
	v_fma_f32 v10, v12, v49, -v44
	v_fmac_f32_e32 v31, v16, v49
	v_fma_f32 v5, v13, v51, -v46
	;; [unrolled: 2-line block ×7, first 2 shown]
	v_fmac_f32_e32 v40, v42, v61
	s_and_saveexec_b64 s[4:5], s[0:1]
	s_cbranch_execz .LBB0_27
; %bb.26:
	v_sub_f32_e32 v3, v38, v40
	v_mul_f32_e32 v8, 0xbe903f40, v3
	v_sub_f32_e32 v17, v35, v37
	v_add_f32_e32 v2, v39, v16
	v_mov_b32_e32 v9, v8
	v_mul_f32_e32 v18, 0x3f0a6770, v17
	v_fmac_f32_e32 v9, 0xbf75a155, v2
	v_add_f32_e32 v12, v36, v15
	v_mov_b32_e32 v19, v18
	v_sub_f32_e32 v20, v33, v14
	v_add_f32_e32 v9, v6, v9
	v_fmac_f32_e32 v19, 0x3f575c64, v12
	v_mul_f32_e32 v21, 0xbf4178ce, v20
	s_mov_b32 s7, 0xbf75a155
	v_add_f32_e32 v9, v19, v9
	v_add_f32_e32 v19, v34, v13
	v_mov_b32_e32 v41, v21
	v_sub_f32_e32 v42, v31, v32
	s_mov_b32 s10, 0x3f575c64
	v_fma_f32 v8, v2, s7, -v8
	v_fmac_f32_e32 v41, 0xbf27a4f4, v19
	v_mul_f32_e32 v43, 0x3f68dda4, v42
	v_add_f32_e32 v8, v6, v8
	v_fma_f32 v18, v12, s10, -v18
	s_mov_b32 s11, 0xbf27a4f4
	v_add_f32_e32 v9, v41, v9
	v_add_f32_e32 v41, v10, v11
	v_mov_b32_e32 v44, v43
	v_add_f32_e32 v8, v18, v8
	v_fma_f32 v18, v19, s11, -v21
	s_mov_b32 s14, 0x3ed4b147
	v_fmac_f32_e32 v44, 0x3ed4b147, v41
	v_sub_f32_e32 v45, v29, v30
	v_add_f32_e32 v8, v18, v8
	v_fma_f32 v18, v41, s14, -v43
	v_add_f32_e32 v9, v44, v9
	s_mov_b32 s6, 0xbe11bafb
	v_add_f32_e32 v44, v5, v7
	v_mul_f32_e32 v46, 0xbf7d64f0, v45
	v_add_f32_e32 v8, v18, v8
	v_mul_f32_e32 v18, 0xbf4178ce, v3
	v_fma_f32 v47, v44, s6, -v46
	v_fmac_f32_e32 v46, 0xbe11bafb, v44
	v_mov_b32_e32 v21, v18
	v_mul_f32_e32 v43, 0x3f7d64f0, v17
	v_add_f32_e32 v9, v46, v9
	v_fmac_f32_e32 v21, 0xbf27a4f4, v2
	v_mov_b32_e32 v46, v43
	v_add_f32_e32 v21, v6, v21
	v_fmac_f32_e32 v46, 0xbe11bafb, v12
	v_add_f32_e32 v21, v46, v21
	v_mul_f32_e32 v46, 0xbf0a6770, v20
	v_add_f32_e32 v8, v47, v8
	v_mov_b32_e32 v47, v46
	v_fmac_f32_e32 v47, 0x3f575c64, v19
	v_add_f32_e32 v21, v47, v21
	v_mul_f32_e32 v47, 0xbe903f40, v42
	v_fma_f32 v18, v2, s11, -v18
	v_fma_f32 v48, v41, s7, -v47
	v_fmac_f32_e32 v47, 0xbf75a155, v41
	v_add_f32_e32 v18, v6, v18
	v_fma_f32 v43, v12, s6, -v43
	v_add_f32_e32 v21, v47, v21
	v_mul_f32_e32 v47, 0x3f68dda4, v45
	v_add_f32_e32 v18, v43, v18
	v_fma_f32 v43, v19, s10, -v46
	v_fma_f32 v49, v44, s14, -v47
	v_fmac_f32_e32 v47, 0x3ed4b147, v44
	v_add_f32_e32 v18, v43, v18
	v_mul_f32_e32 v43, 0xbf7d64f0, v3
	v_add_f32_e32 v21, v47, v21
	v_mov_b32_e32 v46, v43
	v_mul_f32_e32 v47, 0x3e903f40, v17
	v_add_f32_e32 v18, v48, v18
	v_fmac_f32_e32 v46, 0xbe11bafb, v2
	v_mov_b32_e32 v48, v47
	v_add_f32_e32 v46, v6, v46
	v_fmac_f32_e32 v48, 0xbf75a155, v12
	v_add_f32_e32 v46, v48, v46
	v_mul_f32_e32 v48, 0x3f68dda4, v20
	v_add_f32_e32 v18, v49, v18
	v_mov_b32_e32 v49, v48
	v_fmac_f32_e32 v49, 0x3ed4b147, v19
	v_add_f32_e32 v46, v49, v46
	v_mul_f32_e32 v49, 0xbf0a6770, v42
	v_fma_f32 v43, v2, s6, -v43
	v_fma_f32 v50, v41, s10, -v49
	v_fmac_f32_e32 v49, 0x3f575c64, v41
	v_add_f32_e32 v43, v6, v43
	v_fma_f32 v47, v12, s7, -v47
	v_add_f32_e32 v46, v49, v46
	v_mul_f32_e32 v49, 0xbf4178ce, v45
	v_add_f32_e32 v43, v47, v43
	v_fma_f32 v47, v19, s14, -v48
	v_fma_f32 v51, v44, s11, -v49
	v_fmac_f32_e32 v49, 0xbf27a4f4, v44
	v_add_f32_e32 v43, v47, v43
	v_mul_f32_e32 v47, 0xbf68dda4, v3
	v_add_f32_e32 v46, v49, v46
	v_mov_b32_e32 v48, v47
	v_mul_f32_e32 v49, 0xbf4178ce, v17
	v_add_f32_e32 v43, v50, v43
	v_fmac_f32_e32 v48, 0x3ed4b147, v2
	v_mov_b32_e32 v50, v49
	v_add_f32_e32 v48, v6, v48
	v_fmac_f32_e32 v50, 0xbf27a4f4, v12
	v_fma_f32 v47, v2, s14, -v47
	v_add_f32_e32 v48, v50, v48
	v_mul_f32_e32 v50, 0x3e903f40, v20
	v_add_f32_e32 v47, v6, v47
	v_fma_f32 v49, v12, s11, -v49
	v_add_f32_e32 v47, v49, v47
	v_fma_f32 v49, v19, s7, -v50
	v_mul_f32_e32 v3, 0xbf0a6770, v3
	v_add_f32_e32 v43, v51, v43
	v_mov_b32_e32 v51, v50
	v_add_f32_e32 v47, v49, v47
	v_mov_b32_e32 v49, v3
	v_fmac_f32_e32 v51, 0xbf75a155, v19
	v_fmac_f32_e32 v49, 0x3f575c64, v2
	v_mul_f32_e32 v17, 0xbf68dda4, v17
	v_fma_f32 v2, v2, s10, -v3
	v_add_f32_e32 v48, v51, v48
	v_mul_f32_e32 v51, 0x3f7d64f0, v42
	v_mul_f32_e32 v20, 0xbf7d64f0, v20
	v_fma_f32 v3, v12, s14, -v17
	v_add_f32_e32 v2, v6, v2
	v_fma_f32 v52, v41, s6, -v51
	v_fmac_f32_e32 v51, 0xbe11bafb, v41
	v_mul_f32_e32 v42, 0xbf4178ce, v42
	v_add_f32_e32 v2, v3, v2
	v_fma_f32 v3, v19, s6, -v20
	v_add_f32_e32 v48, v51, v48
	v_mul_f32_e32 v51, 0x3f0a6770, v45
	v_mul_f32_e32 v45, 0xbe903f40, v45
	v_add_f32_e32 v2, v3, v2
	v_fma_f32 v3, v41, s11, -v42
	v_add_f32_e32 v2, v3, v2
	v_fma_f32 v3, v44, s7, -v45
	v_add_f32_e32 v2, v3, v2
	v_add_f32_e32 v3, v6, v39
	;; [unrolled: 1-line block ×5, first 2 shown]
	v_mov_b32_e32 v50, v17
	v_add_f32_e32 v3, v3, v5
	v_add_f32_e32 v49, v6, v49
	v_fmac_f32_e32 v50, 0x3ed4b147, v12
	v_add_f32_e32 v3, v3, v7
	v_add_f32_e32 v49, v50, v49
	v_mov_b32_e32 v50, v20
	v_add_f32_e32 v3, v3, v11
	v_fmac_f32_e32 v50, 0xbe11bafb, v19
	v_add_f32_e32 v3, v3, v13
	v_mov_b32_e32 v12, 2
	v_add_f32_e32 v49, v50, v49
	v_mov_b32_e32 v50, v42
	v_add_f32_e32 v3, v3, v15
	v_mul_u32_u24_e32 v6, 0x738, v27
	v_lshlrev_b32_sdwa v12, v12, v28 dst_sel:DWORD dst_unused:UNUSED_PAD src0_sel:DWORD src1_sel:BYTE_0
	v_fma_f32 v53, v44, s10, -v51
	v_add_f32_e32 v47, v52, v47
	v_fmac_f32_e32 v50, 0xbf27a4f4, v41
	v_add_f32_e32 v3, v3, v16
	v_add3_u32 v6, 0, v6, v12
	v_fmac_f32_e32 v51, 0x3f575c64, v44
	v_add_f32_e32 v47, v53, v47
	v_add_f32_e32 v49, v50, v49
	v_mov_b32_e32 v50, v45
	ds_write2_b32 v6, v3, v2 offset1:42
	ds_write2_b32 v6, v47, v43 offset0:84 offset1:126
	ds_write2_b32 v6, v18, v8 offset0:168 offset1:210
	v_add_u32_e32 v2, 0x200, v6
	v_add_f32_e32 v48, v51, v48
	v_fmac_f32_e32 v50, 0xbf75a155, v44
	ds_write2_b32 v2, v9, v21 offset0:124 offset1:166
	v_add_u32_e32 v2, 0x400, v6
	v_add_f32_e32 v49, v50, v49
	ds_write2_b32 v2, v46, v48 offset0:80 offset1:122
	ds_write_b32 v6, v49 offset:1680
.LBB0_27:
	s_or_b64 exec, exec, s[4:5]
	v_add_u32_e32 v2, 0xa80, v24
	s_waitcnt lgkmcnt(0)
	s_barrier
	ds_read_b32 v6, v24
	ds_read2_b32 v[2:3], v2 offset0:21 offset1:252
	ds_read_b32 v8, v26
	ds_read_b32 v9, v25
	ds_read_b32 v12, v24 offset:4620
	s_waitcnt lgkmcnt(0)
	s_barrier
	s_and_saveexec_b64 s[4:5], s[0:1]
	s_cbranch_execz .LBB0_29
; %bb.28:
	v_add_f32_e32 v17, v4, v38
	v_add_f32_e32 v17, v17, v35
	;; [unrolled: 1-line block ×7, first 2 shown]
	v_sub_f32_e32 v16, v39, v16
	v_add_f32_e32 v17, v17, v14
	v_mul_f32_e32 v19, 0xbf0a6770, v16
	v_mul_f32_e32 v21, 0xbf68dda4, v16
	;; [unrolled: 1-line block ×5, first 2 shown]
	v_add_f32_e32 v17, v17, v37
	v_add_f32_e32 v18, v38, v40
	s_mov_b32 s0, 0x3f575c64
	s_mov_b32 s1, 0x3ed4b147
	;; [unrolled: 1-line block ×5, first 2 shown]
	v_mov_b32_e32 v43, v16
	v_add_f32_e32 v17, v17, v40
	v_fma_f32 v20, v18, s0, -v19
	v_fmac_f32_e32 v19, 0x3f575c64, v18
	v_fma_f32 v38, v18, s1, -v21
	v_fmac_f32_e32 v21, 0x3ed4b147, v18
	;; [unrolled: 2-line block ×4, first 2 shown]
	v_fmac_f32_e32 v43, 0xbf75a155, v18
	v_fma_f32 v16, v18, s10, -v16
	v_sub_f32_e32 v15, v36, v15
	v_add_f32_e32 v19, v4, v19
	v_add_f32_e32 v20, v4, v20
	;; [unrolled: 1-line block ×11, first 2 shown]
	v_mul_f32_e32 v18, 0xbf68dda4, v15
	v_fma_f32 v35, v16, s1, -v18
	v_fmac_f32_e32 v18, 0x3ed4b147, v16
	v_add_f32_e32 v18, v18, v19
	v_add_f32_e32 v19, v35, v20
	v_mul_f32_e32 v20, 0xbf4178ce, v15
	v_fma_f32 v35, v16, s7, -v20
	v_fmac_f32_e32 v20, 0xbf27a4f4, v16
	v_add_f32_e32 v20, v20, v21
	v_add_f32_e32 v21, v35, v38
	v_mul_f32_e32 v35, 0x3e903f40, v15
	v_fma_f32 v36, v16, s10, -v35
	v_fmac_f32_e32 v35, 0xbf75a155, v16
	v_mul_f32_e32 v37, 0x3f7d64f0, v15
	v_mul_f32_e32 v15, 0x3f0a6770, v15
	v_add_f32_e32 v35, v35, v39
	v_mov_b32_e32 v39, v15
	v_fma_f32 v15, v16, s0, -v15
	v_sub_f32_e32 v13, v34, v13
	v_add_f32_e32 v4, v15, v4
	v_add_f32_e32 v14, v33, v14
	v_mul_f32_e32 v15, 0xbf7d64f0, v13
	v_fma_f32 v38, v16, s6, -v37
	v_fmac_f32_e32 v37, 0xbe11bafb, v16
	v_fmac_f32_e32 v39, 0x3f575c64, v16
	v_fma_f32 v16, v14, s6, -v15
	v_fmac_f32_e32 v15, 0xbe11bafb, v14
	v_add_f32_e32 v15, v15, v18
	v_mul_f32_e32 v18, 0x3e903f40, v13
	v_add_f32_e32 v16, v16, v19
	v_fma_f32 v19, v14, s10, -v18
	v_fmac_f32_e32 v18, 0xbf75a155, v14
	v_add_f32_e32 v18, v18, v20
	v_mul_f32_e32 v20, 0x3f68dda4, v13
	v_add_f32_e32 v19, v19, v21
	v_fma_f32 v21, v14, s1, -v20
	v_fmac_f32_e32 v20, 0x3ed4b147, v14
	v_mul_f32_e32 v33, 0xbf0a6770, v13
	v_mul_f32_e32 v13, 0xbf4178ce, v13
	v_add_f32_e32 v20, v20, v35
	v_mov_b32_e32 v35, v13
	v_fma_f32 v13, v14, s7, -v13
	v_sub_f32_e32 v10, v10, v11
	v_add_f32_e32 v4, v13, v4
	v_add_f32_e32 v13, v31, v32
	v_mul_f32_e32 v11, 0xbf4178ce, v10
	v_fma_f32 v34, v14, s0, -v33
	v_fmac_f32_e32 v33, 0x3f575c64, v14
	v_fmac_f32_e32 v35, 0xbf27a4f4, v14
	v_fma_f32 v14, v13, s7, -v11
	v_fmac_f32_e32 v11, 0xbf27a4f4, v13
	v_add_f32_e32 v11, v11, v15
	v_mul_f32_e32 v15, 0x3f7d64f0, v10
	v_add_f32_e32 v14, v14, v16
	v_fma_f32 v16, v13, s6, -v15
	v_fmac_f32_e32 v15, 0xbe11bafb, v13
	v_add_f32_e32 v15, v15, v18
	v_mul_f32_e32 v18, 0xbf0a6770, v10
	v_add_f32_e32 v16, v16, v19
	v_fma_f32 v19, v13, s0, -v18
	v_fmac_f32_e32 v18, 0x3f575c64, v13
	v_add_f32_e32 v18, v18, v20
	v_mul_f32_e32 v20, 0xbe903f40, v10
	v_mul_f32_e32 v10, 0x3f68dda4, v10
	v_add_f32_e32 v36, v36, v40
	v_mov_b32_e32 v31, v10
	v_fma_f32 v10, v13, s1, -v10
	v_sub_f32_e32 v5, v5, v7
	v_add_f32_e32 v21, v21, v36
	v_add_f32_e32 v4, v10, v4
	;; [unrolled: 1-line block ×3, first 2 shown]
	v_mul_f32_e32 v7, 0xbe903f40, v5
	v_add_f32_e32 v19, v19, v21
	v_fma_f32 v21, v13, s10, -v20
	v_fmac_f32_e32 v20, 0xbf75a155, v13
	v_fmac_f32_e32 v31, 0x3ed4b147, v13
	v_fma_f32 v13, v10, s10, -v7
	v_fmac_f32_e32 v7, 0xbf75a155, v10
	v_add_f32_e32 v7, v7, v11
	v_add_f32_e32 v11, v13, v14
	v_mul_f32_e32 v13, 0x3f0a6770, v5
	v_fma_f32 v14, v10, s0, -v13
	v_fmac_f32_e32 v13, 0x3f575c64, v10
	v_add_f32_e32 v13, v13, v15
	v_mul_f32_e32 v15, 0xbf4178ce, v5
	v_add_f32_e32 v37, v37, v41
	v_add_f32_e32 v14, v14, v16
	v_fma_f32 v16, v10, s7, -v15
	v_fmac_f32_e32 v15, 0xbf27a4f4, v10
	v_add_f32_e32 v33, v33, v37
	v_add_f32_e32 v15, v15, v18
	v_mul_f32_e32 v18, 0x3f68dda4, v5
	v_add_f32_e32 v20, v20, v33
	v_add_f32_e32 v16, v16, v19
	v_fma_f32 v19, v10, s1, -v18
	v_fmac_f32_e32 v18, 0x3ed4b147, v10
	v_mul_f32_e32 v5, 0xbf7d64f0, v5
	v_add_f32_e32 v18, v18, v20
	v_mov_b32_e32 v20, v5
	v_add_f32_e32 v38, v38, v42
	v_add_f32_e32 v39, v39, v43
	v_fmac_f32_e32 v20, 0xbe11bafb, v10
	v_fma_f32 v5, v10, s6, -v5
	v_mov_b32_e32 v10, 2
	v_add_f32_e32 v34, v34, v38
	v_add_f32_e32 v35, v35, v39
	;; [unrolled: 1-line block ×3, first 2 shown]
	v_mul_u32_u24_e32 v5, 0x738, v27
	v_lshlrev_b32_sdwa v10, v10, v28 dst_sel:DWORD dst_unused:UNUSED_PAD src0_sel:DWORD src1_sel:BYTE_0
	v_add_f32_e32 v21, v21, v34
	v_add_f32_e32 v31, v31, v35
	v_add3_u32 v5, 0, v5, v10
	v_add_f32_e32 v19, v19, v21
	v_add_f32_e32 v20, v20, v31
	ds_write2_b32 v5, v17, v7 offset1:42
	ds_write2_b32 v5, v13, v15 offset0:84 offset1:126
	ds_write2_b32 v5, v18, v20 offset0:168 offset1:210
	v_add_u32_e32 v7, 0x200, v5
	ds_write2_b32 v7, v4, v19 offset0:124 offset1:166
	v_add_u32_e32 v4, 0x400, v5
	ds_write2_b32 v4, v16, v14 offset0:80 offset1:122
	ds_write_b32 v5, v11 offset:1680
.LBB0_29:
	s_or_b64 exec, exec, s[4:5]
	s_waitcnt lgkmcnt(0)
	s_barrier
	s_and_saveexec_b64 s[0:1], vcc
	s_cbranch_execz .LBB0_31
; %bb.30:
	v_lshlrev_b32_e32 v4, 1, v23
	v_mov_b32_e32 v5, 0
	v_lshlrev_b64 v[10:11], 3, v[4:5]
	v_lshlrev_b32_e32 v4, 1, v22
	v_mov_b32_e32 v7, s9
	v_add_co_u32_e32 v10, vcc, s8, v10
	v_lshlrev_b64 v[4:5], 3, v[4:5]
	v_addc_co_u32_e32 v11, vcc, v7, v11, vcc
	v_add_co_u32_e32 v4, vcc, s8, v4
	global_load_dwordx4 v[13:16], v[10:11], off offset:3680
	v_addc_co_u32_e32 v5, vcc, v7, v5, vcc
	global_load_dwordx4 v[17:20], v[4:5], off offset:3680
	v_mad_u64_u32 v[4:5], s[0:1], s2, v22, 0
	v_add_u32_e32 v7, 0xa80, v24
	ds_read_b32 v21, v26
	ds_read_b32 v26, v25
	ds_read_b32 v27, v24 offset:4620
	ds_read_b32 v28, v24
	v_mov_b32_e32 v23, s13
	v_add_u32_e32 v25, 0x1ce, v22
	ds_read2_b32 v[10:11], v7 offset0:21 offset1:252
	v_add_co_u32_e32 v29, vcc, s12, v0
	v_addc_co_u32_e32 v30, vcc, v23, v1, vcc
	v_mad_u64_u32 v[0:1], s[0:1], s2, v25, 0
	v_mad_u64_u32 v[23:24], s[0:1], s3, v22, v[5:6]
	;; [unrolled: 1-line block ×3, first 2 shown]
	v_mov_b32_e32 v5, v23
	v_lshlrev_b64 v[4:5], 3, v[4:5]
	s_movk_i32 s4, 0x39c
	v_add_co_u32_e32 v4, vcc, v29, v4
	v_addc_co_u32_e32 v5, vcc, v30, v5, vcc
	s_waitcnt vmcnt(1) lgkmcnt(0)
	v_mul_f32_e32 v1, v10, v14
	v_mul_f32_e32 v7, v27, v16
	;; [unrolled: 1-line block ×4, first 2 shown]
	v_fma_f32 v1, v2, v13, -v1
	v_fma_f32 v7, v12, v15, -v7
	v_fmac_f32_e32 v14, v13, v10
	v_fmac_f32_e32 v16, v15, v27
	s_waitcnt vmcnt(0)
	v_mul_f32_e32 v2, v26, v18
	v_mul_f32_e32 v10, v11, v20
	v_mul_f32_e32 v12, v9, v18
	v_mul_f32_e32 v13, v3, v20
	v_add_f32_e32 v18, v14, v16
	v_add_f32_e32 v20, v1, v7
	v_sub_f32_e32 v23, v14, v16
	v_add_f32_e32 v14, v14, v21
	v_fma_f32 v9, v9, v17, -v2
	v_fma_f32 v25, v3, v19, -v10
	v_fmac_f32_e32 v12, v17, v26
	v_fmac_f32_e32 v13, v19, v11
	v_sub_f32_e32 v15, v1, v7
	v_add_f32_e32 v1, v8, v1
	v_fma_f32 v3, -0.5, v18, v21
	v_fma_f32 v2, -0.5, v20, v8
	v_add_f32_e32 v8, v16, v14
	v_add_f32_e32 v11, v12, v13
	;; [unrolled: 1-line block ×5, first 2 shown]
	v_sub_f32_e32 v17, v12, v13
	v_fma_f32 v12, -0.5, v11, v28
	v_fma_f32 v11, -0.5, v14, v6
	v_add_f32_e32 v14, v13, v16
	v_add_f32_e32 v13, v18, v25
	v_add_u32_e32 v6, 0x39c, v22
	global_store_dwordx2 v[4:5], v[13:14], off
	v_mad_u64_u32 v[4:5], s[0:1], s2, v6, 0
	v_add_u32_e32 v13, 0xe7, v22
	v_lshrrev_b32_e32 v14, 1, v13
	s_mov_b32 s0, 0x8dda5203
	v_mul_hi_u32 v14, v14, s0
	v_mov_b32_e32 v10, v3
	v_mad_u64_u32 v[5:6], s[0:1], s3, v6, v[5:6]
	v_add_f32_e32 v7, v1, v7
	v_sub_f32_e32 v1, v9, v25
	v_fmac_f32_e32 v3, 0xbf5db3d7, v15
	v_fmac_f32_e32 v10, 0x3f5db3d7, v15
	v_mov_b32_e32 v16, v12
	v_mov_b32_e32 v15, v11
	v_lshrrev_b32_e32 v6, 7, v14
	v_fmac_f32_e32 v12, 0xbf5db3d7, v1
	v_fmac_f32_e32 v11, 0x3f5db3d7, v17
	;; [unrolled: 1-line block ×4, first 2 shown]
	v_mov_b32_e32 v1, v24
	v_mad_u32_u24 v17, v6, s4, v13
	v_lshlrev_b64 v[0:1], 3, v[0:1]
	v_mad_u64_u32 v[13:14], s[0:1], s2, v17, 0
	v_add_co_u32_e32 v0, vcc, v29, v0
	v_addc_co_u32_e32 v1, vcc, v30, v1, vcc
	global_store_dwordx2 v[0:1], v[11:12], off
	v_lshlrev_b64 v[0:1], 3, v[4:5]
	v_mov_b32_e32 v4, v14
	v_mad_u64_u32 v[4:5], s[0:1], s3, v17, v[4:5]
	v_add_u32_e32 v6, 0x1ce, v17
	v_add_co_u32_e32 v0, vcc, v29, v0
	v_mov_b32_e32 v14, v4
	v_mad_u64_u32 v[4:5], s[0:1], s2, v6, 0
	v_addc_co_u32_e32 v1, vcc, v30, v1, vcc
	v_mad_u64_u32 v[5:6], s[0:1], s3, v6, v[5:6]
	v_add_u32_e32 v6, 0x39c, v17
	global_store_dwordx2 v[0:1], v[15:16], off
	v_lshlrev_b64 v[0:1], 3, v[13:14]
	v_mad_u64_u32 v[11:12], s[0:1], s2, v6, 0
	v_add_co_u32_e32 v0, vcc, v29, v0
	v_addc_co_u32_e32 v1, vcc, v30, v1, vcc
	global_store_dwordx2 v[0:1], v[7:8], off
	v_lshlrev_b64 v[0:1], 3, v[4:5]
	v_mov_b32_e32 v4, v12
	v_mad_u64_u32 v[4:5], s[0:1], s3, v6, v[4:5]
	v_add_co_u32_e32 v0, vcc, v29, v0
	v_mov_b32_e32 v9, v2
	v_fmac_f32_e32 v2, 0x3f5db3d7, v23
	v_addc_co_u32_e32 v1, vcc, v30, v1, vcc
	v_mov_b32_e32 v12, v4
	global_store_dwordx2 v[0:1], v[2:3], off
	v_lshlrev_b64 v[0:1], 3, v[11:12]
	v_fmac_f32_e32 v9, 0xbf5db3d7, v23
	v_add_co_u32_e32 v0, vcc, v29, v0
	v_addc_co_u32_e32 v1, vcc, v30, v1, vcc
	global_store_dwordx2 v[0:1], v[9:10], off
.LBB0_31:
	s_endpgm
	.section	.rodata,"a",@progbits
	.p2align	6, 0x0
	.amdhsa_kernel fft_rtc_fwd_len1386_factors_2_7_3_11_3_wgs_231_tpt_231_halfLds_sp_ip_CI_sbrr_dirReg
		.amdhsa_group_segment_fixed_size 0
		.amdhsa_private_segment_fixed_size 0
		.amdhsa_kernarg_size 88
		.amdhsa_user_sgpr_count 6
		.amdhsa_user_sgpr_private_segment_buffer 1
		.amdhsa_user_sgpr_dispatch_ptr 0
		.amdhsa_user_sgpr_queue_ptr 0
		.amdhsa_user_sgpr_kernarg_segment_ptr 1
		.amdhsa_user_sgpr_dispatch_id 0
		.amdhsa_user_sgpr_flat_scratch_init 0
		.amdhsa_user_sgpr_private_segment_size 0
		.amdhsa_uses_dynamic_stack 0
		.amdhsa_system_sgpr_private_segment_wavefront_offset 0
		.amdhsa_system_sgpr_workgroup_id_x 1
		.amdhsa_system_sgpr_workgroup_id_y 0
		.amdhsa_system_sgpr_workgroup_id_z 0
		.amdhsa_system_sgpr_workgroup_info 0
		.amdhsa_system_vgpr_workitem_id 0
		.amdhsa_next_free_vgpr 63
		.amdhsa_next_free_sgpr 24
		.amdhsa_reserve_vcc 1
		.amdhsa_reserve_flat_scratch 0
		.amdhsa_float_round_mode_32 0
		.amdhsa_float_round_mode_16_64 0
		.amdhsa_float_denorm_mode_32 3
		.amdhsa_float_denorm_mode_16_64 3
		.amdhsa_dx10_clamp 1
		.amdhsa_ieee_mode 1
		.amdhsa_fp16_overflow 0
		.amdhsa_exception_fp_ieee_invalid_op 0
		.amdhsa_exception_fp_denorm_src 0
		.amdhsa_exception_fp_ieee_div_zero 0
		.amdhsa_exception_fp_ieee_overflow 0
		.amdhsa_exception_fp_ieee_underflow 0
		.amdhsa_exception_fp_ieee_inexact 0
		.amdhsa_exception_int_div_zero 0
	.end_amdhsa_kernel
	.text
.Lfunc_end0:
	.size	fft_rtc_fwd_len1386_factors_2_7_3_11_3_wgs_231_tpt_231_halfLds_sp_ip_CI_sbrr_dirReg, .Lfunc_end0-fft_rtc_fwd_len1386_factors_2_7_3_11_3_wgs_231_tpt_231_halfLds_sp_ip_CI_sbrr_dirReg
                                        ; -- End function
	.section	.AMDGPU.csdata,"",@progbits
; Kernel info:
; codeLenInByte = 6800
; NumSgprs: 28
; NumVgprs: 63
; ScratchSize: 0
; MemoryBound: 0
; FloatMode: 240
; IeeeMode: 1
; LDSByteSize: 0 bytes/workgroup (compile time only)
; SGPRBlocks: 3
; VGPRBlocks: 15
; NumSGPRsForWavesPerEU: 28
; NumVGPRsForWavesPerEU: 63
; Occupancy: 4
; WaveLimiterHint : 1
; COMPUTE_PGM_RSRC2:SCRATCH_EN: 0
; COMPUTE_PGM_RSRC2:USER_SGPR: 6
; COMPUTE_PGM_RSRC2:TRAP_HANDLER: 0
; COMPUTE_PGM_RSRC2:TGID_X_EN: 1
; COMPUTE_PGM_RSRC2:TGID_Y_EN: 0
; COMPUTE_PGM_RSRC2:TGID_Z_EN: 0
; COMPUTE_PGM_RSRC2:TIDIG_COMP_CNT: 0
	.type	__hip_cuid_632dfe9ae0a0c54b,@object ; @__hip_cuid_632dfe9ae0a0c54b
	.section	.bss,"aw",@nobits
	.globl	__hip_cuid_632dfe9ae0a0c54b
__hip_cuid_632dfe9ae0a0c54b:
	.byte	0                               ; 0x0
	.size	__hip_cuid_632dfe9ae0a0c54b, 1

	.ident	"AMD clang version 19.0.0git (https://github.com/RadeonOpenCompute/llvm-project roc-6.4.0 25133 c7fe45cf4b819c5991fe208aaa96edf142730f1d)"
	.section	".note.GNU-stack","",@progbits
	.addrsig
	.addrsig_sym __hip_cuid_632dfe9ae0a0c54b
	.amdgpu_metadata
---
amdhsa.kernels:
  - .args:
      - .actual_access:  read_only
        .address_space:  global
        .offset:         0
        .size:           8
        .value_kind:     global_buffer
      - .offset:         8
        .size:           8
        .value_kind:     by_value
      - .actual_access:  read_only
        .address_space:  global
        .offset:         16
        .size:           8
        .value_kind:     global_buffer
      - .actual_access:  read_only
        .address_space:  global
        .offset:         24
        .size:           8
        .value_kind:     global_buffer
      - .offset:         32
        .size:           8
        .value_kind:     by_value
      - .actual_access:  read_only
        .address_space:  global
        .offset:         40
        .size:           8
        .value_kind:     global_buffer
      - .actual_access:  read_only
        .address_space:  global
        .offset:         48
        .size:           8
        .value_kind:     global_buffer
      - .offset:         56
        .size:           4
        .value_kind:     by_value
      - .actual_access:  read_only
        .address_space:  global
        .offset:         64
        .size:           8
        .value_kind:     global_buffer
      - .actual_access:  read_only
        .address_space:  global
        .offset:         72
        .size:           8
        .value_kind:     global_buffer
      - .address_space:  global
        .offset:         80
        .size:           8
        .value_kind:     global_buffer
    .group_segment_fixed_size: 0
    .kernarg_segment_align: 8
    .kernarg_segment_size: 88
    .language:       OpenCL C
    .language_version:
      - 2
      - 0
    .max_flat_workgroup_size: 231
    .name:           fft_rtc_fwd_len1386_factors_2_7_3_11_3_wgs_231_tpt_231_halfLds_sp_ip_CI_sbrr_dirReg
    .private_segment_fixed_size: 0
    .sgpr_count:     28
    .sgpr_spill_count: 0
    .symbol:         fft_rtc_fwd_len1386_factors_2_7_3_11_3_wgs_231_tpt_231_halfLds_sp_ip_CI_sbrr_dirReg.kd
    .uniform_work_group_size: 1
    .uses_dynamic_stack: false
    .vgpr_count:     63
    .vgpr_spill_count: 0
    .wavefront_size: 64
amdhsa.target:   amdgcn-amd-amdhsa--gfx906
amdhsa.version:
  - 1
  - 2
...

	.end_amdgpu_metadata
